;; amdgpu-corpus repo=zjin-lcf/HeCBench kind=compiled arch=gfx1250 opt=O3
	.amdgcn_target "amdgcn-amd-amdhsa--gfx1250"
	.amdhsa_code_object_version 6
	.text
	.protected	_Z9FSMKerneliPKtPiPjPhS3_S1_S1_S1_ ; -- Begin function _Z9FSMKerneliPKtPiPjPhS3_S1_S1_S1_
	.globl	_Z9FSMKerneliPKtPiPjPhS3_S1_S1_S1_
	.p2align	8
	.type	_Z9FSMKerneliPKtPiPjPhS3_S1_S1_S1_,@function
_Z9FSMKerneliPKtPiPjPhS3_S1_S1_S1_:     ; @_Z9FSMKerneliPKtPiPjPhS3_S1_S1_S1_
; %bb.0:
	s_clause 0x1
	s_load_b256 s[12:19], s[0:1], 0x28
	s_load_b256 s[4:11], s[0:1], 0x8
	s_bfe_u32 s2, ttmp6, 0x4000c
	s_and_b32 s3, ttmp6, 15
	s_add_co_i32 s2, s2, 1
	s_getreg_b32 s20, hwreg(HW_REG_IB_STS2, 6, 4)
	s_mul_i32 s2, ttmp9, s2
	s_mov_b32 s23, 0
	s_add_co_i32 s3, s3, s2
	s_cmp_eq_u32 s20, 0
	v_cmp_eq_u32_e64 s2, 0, v0
	s_cselect_b32 s20, ttmp9, s3
	s_mov_b32 s21, s23
	s_wait_kmcnt 0x0
	s_add_nc_u64 s[12:13], s[12:13], s[20:21]
	s_and_saveexec_b32 s3, s2
	s_cbranch_execz .LBB0_2
; %bb.1:
	v_mov_b32_e32 v1, 0
	s_lshl_b64 s[24:25], s[20:21], 2
	s_delay_alu instid0(SALU_CYCLE_1)
	s_add_nc_u64 s[24:25], s[18:19], s[24:25]
	s_clause 0x1
	global_store_b32 v1, v1, s[24:25]
	global_store_b8 v1, v1, s[12:13]
.LBB0_2:
	s_wait_xcnt 0x0
	s_or_b32 exec_lo, exec_lo, s3
	s_wait_storecnt 0x0
	s_barrier_signal -1
	s_barrier_wait -1
	s_clause 0x1
	s_load_b32 s22, s[0:1], 0x54
	s_load_b32 s3, s[0:1], 0x0
	s_movk_i32 s25, 0x6879
	s_movk_i32 s27, 0x6521
	;; [unrolled: 1-line block ×7, first 2 shown]
	s_mov_b32 s38, 0x1c2e41
	s_movk_i32 s36, 0x3499
	s_movk_i32 s35, 0x1d9d
	;; [unrolled: 1-line block ×3, first 2 shown]
	s_wait_kmcnt 0x0
	s_and_b32 s0, s22, 0xffff
	s_movk_i32 s22, 0x9211
	v_mad_u32 v4, s20, s0, v0
	s_cmp_gt_i32 s3, 0
	s_cselect_b32 s28, -1, 0
	s_lshl_b64 s[0:1], s[20:21], 2
	s_and_b32 s29, s3, 7
	s_cmp_gt_u32 s3, 7
	s_add_nc_u64 s[14:15], s[14:15], s[0:1]
	s_cselect_b32 s30, -1, 0
	s_add_nc_u64 s[16:17], s[16:17], s[0:1]
	s_add_nc_u64 s[18:19], s[18:19], s[0:1]
	s_delay_alu instid0(VALU_DEP_1) | instskip(SKIP_1) | instid1(VALU_DEP_1)
	v_xor_b32_e32 v1, 0x4d2, v4
	s_mov_b32 s1, 0
	v_mad_u32 v1, 0x1984a2d, v1, 1
	s_delay_alu instid0(VALU_DEP_1)
	v_mad_u16 v10, v1, s25, 0xab1a
	v_mad_u16 v12, v1, s27, 0x70d8
	;; [unrolled: 1-line block ×5, first 2 shown]
	v_and_b32_e32 v10, 7, v10
	v_and_b32_e32 v12, 7, v12
	v_mad_u16 v16, v1, s34, 0x1a64
	v_and_b32_e32 v2, 0x7fffffff, v1
	v_and_b32_e32 v14, 7, v14
	v_lshlrev_b16 v10, 8, v10
	v_lshlrev_b16 v12, 8, v12
	v_mad_u16 v5, 0x7e9, v1, 46
	v_mad_u16 v8, v1, s22, 0x6c0c
	;; [unrolled: 1-line block ×3, first 2 shown]
	v_bitop3_b16 v9, v9, v10, 7 bitop3:0xec
	v_bitop3_b16 v10, v11, v12, 7 bitop3:0xec
	v_and_b32_e32 v16, 7, v16
	v_mad_u16 v15, 0x8b95, v1, -1
	v_lshlrev_b16 v14, 8, v14
	v_mad_u32 v19, v2, s38, 0xaf5464b0
	v_dual_lshlrev_b32 v6, 4, v0 :: v_dual_bitop2_b32 v5, 7, v5 bitop3:0x40
	v_lshlrev_b16 v16, 8, v16
	s_delay_alu instid0(VALU_DEP_4)
	v_bitop3_b16 v13, v13, v14, 7 bitop3:0xec
	v_mad_u16 v3, v1, 45, 1
	v_mad_u16 v7, 0x63f5, v1, -1
	v_mad_u16 v18, v1, s36, 0xc132
	v_bitop3_b16 v14, v15, v16, 7 bitop3:0xec
	v_and_b32_e32 v8, 7, v8
	v_lshlrev_b16 v5, 8, v5
	v_and_b32_e32 v15, 7, v19
	v_and_b32_e32 v2, 7, v18
	v_lshlrev_b32_e32 v11, 16, v14
	v_lshlrev_b16 v8, 8, v8
	v_bitop3_b16 v3, v3, v5, 7 bitop3:0xec
	v_mad_u16 v17, v1, s35, 0xa395
	v_mad_u16 v1, v1, s37, 0xf5cb
	v_and_b32_e32 v9, 0xffff, v9
	v_bitop3_b16 v5, v7, v8, 7 bitop3:0xec
	v_lshlrev_b16 v7, 8, v15
	v_and_b32_e32 v8, 0xffff, v13
	v_and_b32_e32 v3, 0xffff, v3
	s_and_b32 s31, s3, 0x7ffffff8
	v_dual_lshlrev_b32 v12, 16, v5 :: v_dual_ashrrev_i32 v5, 31, v4
	v_lshlrev_b16 v2, 8, v2
	v_bitop3_b16 v1, v1, v7, 7 bitop3:0xec
	v_dual_lshlrev_b32 v7, 16, v10 :: v_dual_bitop2_b32 v10, v8, v11 bitop3:0x54
	s_delay_alu instid0(VALU_DEP_4) | instskip(NEXT) | instid1(VALU_DEP_4)
	v_or_b32_e32 v8, v3, v12
	v_bitop3_b16 v2, v17, v2, 7 bitop3:0xec
	s_delay_alu instid0(VALU_DEP_3) | instskip(SKIP_2) | instid1(VALU_DEP_2)
	v_dual_lshlrev_b32 v1, 16, v1 :: v_dual_bitop2_b32 v9, v9, v7 bitop3:0x54
	s_cmp_lg_u32 s29, 0
	s_mov_b64 s[26:27], 0x8000
	v_and_b32_e32 v2, 0xffff, v2
	s_cselect_b32 s33, -1, 0
	s_add_nc_u64 s[24:25], s[4:5], 14
	s_mov_b32 s34, 0x84ee0be9
	s_delay_alu instid0(VALU_DEP_1)
	v_or_b32_e32 v11, v2, v1
	v_lshl_add_u64 v[2:3], v[4:5], 2, s[8:9]
	v_and_b32_e32 v1, 0x7fffffff, v19
	v_mov_b32_e32 v5, 0
	ds_store_b128 v6, v[8:11]
	global_store_b32 v4, v1, s[8:9] scale_offset
	s_branch .LBB0_4
.LBB0_3:                                ;   in Loop: Header=BB0_4 Depth=1
	s_or_b32 exec_lo, exec_lo, s8
	global_load_u8 v4, v5, s[12:13]
	s_mov_b64 s[26:27], 0x8000
	s_mov_b32 s1, 0
	global_store_b32 v[2:3], v7, off
	s_wait_loadcnt 0x0
	v_cmp_eq_u32_e32 vcc_lo, 0, v4
	s_cbranch_vccz .LBB0_106
.LBB0_4:                                ; =>This Loop Header: Depth=1
                                        ;     Child Loop BB0_8 Depth 2
                                        ;     Child Loop BB0_13 Depth 2
	;; [unrolled: 1-line block ×5, first 2 shown]
	s_add_nc_u64 s[26:27], s[26:27], -4
	scratch_store_b32 off, v5, s1
	s_wait_xcnt 0x0
	s_add_co_i32 s1, s1, 4
	s_cmp_lg_u64 s[26:27], 0
	s_cbranch_scc1 .LBB0_4
; %bb.5:                                ;   in Loop: Header=BB0_4 Depth=1
	v_mov_b32_e32 v1, 0
	s_and_not1_b32 vcc_lo, exec_lo, s28
	s_cbranch_vccnz .LBB0_10
; %bb.6:                                ;   in Loop: Header=BB0_4 Depth=1
	s_and_not1_b32 vcc_lo, exec_lo, s30
	s_cbranch_vccnz .LBB0_11
; %bb.7:                                ;   in Loop: Header=BB0_4 Depth=1
	s_mov_b32 s8, 0
	s_mov_b64 s[0:1], s[24:25]
.LBB0_8:                                ;   Parent Loop BB0_4 Depth=1
                                        ; =>  This Inner Loop Header: Depth=2
	global_load_b128 v[8:11], v5, s[0:1] offset:-14
	s_add_co_i32 s8, s8, 8
	s_wait_xcnt 0x0
	s_add_nc_u64 s[0:1], s[0:1], 16
	s_wait_loadcnt 0x0
	v_readfirstlane_b32 s9, v8
	s_bfe_u32 s22, s9, 0xf0001
	s_and_b32 s26, s9, 1
	scratch_load_u8 v4, off, s22
	s_wait_loadcnt 0x0
	v_lshlrev_b32_e32 v7, 1, v4
	v_bitop3_b32 v4, v4, 1, s9 bitop3:0x48
	s_delay_alu instid0(VALU_DEP_2)
	v_add3_u32 v7, v6, v7, s26
	s_lshr_b32 s26, s9, 17
	ds_load_u8 v7, v7
	s_wait_dscnt 0x0
	s_clause 0x1
	scratch_store_b8 off, v7, s22
	scratch_load_u8 v7, off, s26
	s_bfe_u32 s22, s9, 0x10010
	s_wait_loadcnt 0x0
	v_lshlrev_b32_e32 v8, 1, v7
	s_delay_alu instid0(VALU_DEP_1)
	v_add3_u32 v8, v6, v8, s22
	v_readfirstlane_b32 s22, v9
	ds_load_u8 v8, v8
	s_bfe_u32 s27, s22, 0xf0001
	s_lshr_b32 s37, s22, 16
	s_wait_dscnt 0x0
	s_clause 0x1
	scratch_store_b8 off, v8, s26
	scratch_load_u8 v8, off, s27
	s_and_b32 s26, s22, 1
	s_wait_loadcnt 0x0
	v_lshlrev_b32_e32 v9, 1, v8
	s_delay_alu instid0(VALU_DEP_1)
	v_add3_u32 v9, v6, v9, s26
	s_lshr_b32 s26, s22, 17
	ds_load_u8 v9, v9
	s_wait_dscnt 0x0
	s_clause 0x1
	scratch_store_b8 off, v9, s27
	scratch_load_u8 v9, off, s26
	s_bfe_u32 s27, s22, 0x10010
	s_wait_loadcnt 0x0
	v_lshlrev_b32_e32 v12, 1, v9
	s_delay_alu instid0(VALU_DEP_1)
	v_add3_u32 v12, v6, v12, s27
	v_readfirstlane_b32 s27, v10
	ds_load_u8 v12, v12
	s_bfe_u32 s35, s27, 0xf0001
	s_lshr_b32 s38, s27, 16
	s_wait_dscnt 0x0
	s_clause 0x1
	scratch_store_b8 off, v12, s26
	scratch_load_u8 v10, off, s35
	s_wait_xcnt 0x1
	s_and_b32 s26, s27, 1
	s_wait_loadcnt 0x0
	v_lshlrev_b32_e32 v12, 1, v10
	s_delay_alu instid0(VALU_DEP_1)
	v_add3_u32 v12, v6, v12, s26
	s_lshr_b32 s26, s27, 17
	ds_load_u8 v12, v12
	s_wait_dscnt 0x0
	s_clause 0x1
	scratch_store_b8 off, v12, s35
	scratch_load_u8 v12, off, s26
	s_bfe_u32 s35, s27, 0x10010
	s_wait_loadcnt 0x0
	v_lshlrev_b32_e32 v13, 1, v12
	s_delay_alu instid0(VALU_DEP_1)
	v_add3_u32 v13, v6, v13, s35
	v_readfirstlane_b32 s35, v11
	ds_load_u8 v13, v13
	s_bfe_u32 s36, s35, 0xf0001
	s_bfe_u32 s39, s35, 0x10010
	s_wait_dscnt 0x0
	s_clause 0x1
	scratch_store_b8 off, v13, s26
	scratch_load_u8 v11, off, s36
	s_wait_xcnt 0x1
	s_and_b32 s26, s35, 1
	s_wait_loadcnt 0x0
	v_lshlrev_b32_e32 v13, 1, v11
	s_delay_alu instid0(VALU_DEP_1)
	v_add3_u32 v13, v6, v13, s26
	s_lshr_b32 s26, s35, 17
	ds_load_u8 v13, v13
	s_wait_dscnt 0x0
	s_clause 0x1
	scratch_store_b8 off, v13, s36
	scratch_load_u8 v13, off, s26
	s_lshr_b32 s36, s9, 16
	s_lshr_b32 s9, s35, 16
	v_bitop3_b32 v7, v7, 1, s36 bitop3:0x48
	s_cmp_eq_u32 s31, s8
	s_delay_alu instid0(VALU_DEP_1) | instskip(SKIP_2) | instid1(VALU_DEP_1)
	v_add3_u32 v1, v4, v1, v7
	v_bitop3_b32 v4, v8, 1, s22 bitop3:0x48
	v_bitop3_b32 v8, v9, 1, s37 bitop3:0x48
	v_add3_u32 v1, v4, v1, v8
	v_bitop3_b32 v4, v10, 1, s27 bitop3:0x48
	v_bitop3_b32 v8, v12, 1, s38 bitop3:0x48
	s_delay_alu instid0(VALU_DEP_1) | instskip(SKIP_4) | instid1(VALU_DEP_2)
	v_add3_u32 v1, v4, v1, v8
	v_bitop3_b32 v4, v11, 1, s35 bitop3:0x48
	s_wait_loadcnt 0x0
	v_lshlrev_b32_e32 v7, 1, v13
	v_bitop3_b32 v8, v13, 1, s9 bitop3:0x48
	v_add3_u32 v7, v6, v7, s39
	s_delay_alu instid0(VALU_DEP_2)
	v_add3_u32 v1, v4, v1, v8
	ds_load_u8 v7, v7
	s_wait_dscnt 0x0
	scratch_store_b8 off, v7, s26
	s_cbranch_scc0 .LBB0_8
; %bb.9:                                ;   in Loop: Header=BB0_4 Depth=1
	s_mov_b32 s0, s31
	s_and_not1_b32 vcc_lo, exec_lo, s33
	s_cbranch_vccz .LBB0_12
	s_branch .LBB0_14
.LBB0_10:                               ;   in Loop: Header=BB0_4 Depth=1
	s_mov_b32 s22, 0
	s_delay_alu instid0(SALU_CYCLE_1)
	s_cmp_ge_i32 s22, s3
	s_cbranch_scc0 .LBB0_15
	s_branch .LBB0_17
.LBB0_11:                               ;   in Loop: Header=BB0_4 Depth=1
	s_mov_b32 s0, 0
	s_and_not1_b32 vcc_lo, exec_lo, s33
	s_cbranch_vccnz .LBB0_14
.LBB0_12:                               ;   in Loop: Header=BB0_4 Depth=1
	s_lshl_b32 s22, s0, 1
	s_mov_b32 s8, s29
	s_add_nc_u64 s[0:1], s[4:5], s[22:23]
.LBB0_13:                               ;   Parent Loop BB0_4 Depth=1
                                        ; =>  This Inner Loop Header: Depth=2
	s_load_u16 s9, s[0:1], 0x0
	s_add_co_i32 s8, s8, -1
	s_wait_xcnt 0x0
	s_add_nc_u64 s[0:1], s[0:1], 2
	s_wait_kmcnt 0x0
	s_lshr_b32 s22, s9, 1
	s_and_b32 s26, s9, 1
	scratch_load_u8 v4, off, s22
	s_cmp_lg_u32 s8, 0
	s_wait_loadcnt 0x0
	v_lshlrev_b32_e32 v7, 1, v4
	v_bitop3_b32 v4, v4, 1, s9 bitop3:0x48
	s_delay_alu instid0(VALU_DEP_1) | instskip(NEXT) | instid1(VALU_DEP_3)
	v_add_nc_u32_e32 v1, v4, v1
	v_add3_u32 v7, v6, v7, s26
	ds_load_u8 v7, v7
	s_wait_dscnt 0x0
	scratch_store_b8 off, v7, s22
	s_cbranch_scc1 .LBB0_13
.LBB0_14:                               ;   in Loop: Header=BB0_4 Depth=1
	s_wait_xcnt 0x0
	s_mov_b32 s22, s3
	s_delay_alu instid0(SALU_CYCLE_1)
	s_cmp_ge_i32 s22, s3
	s_cbranch_scc1 .LBB0_17
.LBB0_15:                               ;   in Loop: Header=BB0_4 Depth=1
	s_lshl_b64 s[0:1], s[22:23], 1
	s_delay_alu instid0(SALU_CYCLE_1)
	s_add_nc_u64 s[0:1], s[4:5], s[0:1]
.LBB0_16:                               ;   Parent Loop BB0_4 Depth=1
                                        ; =>  This Inner Loop Header: Depth=2
	s_load_u16 s8, s[0:1], 0x0
	s_add_co_i32 s22, s22, 1
	s_wait_xcnt 0x0
	s_add_nc_u64 s[0:1], s[0:1], 2
	s_wait_kmcnt 0x0
	s_lshr_b32 s9, s8, 1
	s_and_b32 s26, s8, 1
	scratch_load_u8 v4, off, s9
	s_cmp_lt_i32 s22, s3
	s_wait_loadcnt 0x0
	v_lshlrev_b32_e32 v7, 1, v4
	v_bitop3_b32 v4, v4, 1, s8 bitop3:0x48
	s_delay_alu instid0(VALU_DEP_1) | instskip(NEXT) | instid1(VALU_DEP_3)
	v_add_nc_u32_e32 v1, v4, v1
	v_add3_u32 v7, v6, v7, s26
	ds_load_u8 v7, v7
	s_wait_dscnt 0x0
	scratch_store_b8 off, v7, s9
	s_cbranch_scc1 .LBB0_16
.LBB0_17:                               ;   in Loop: Header=BB0_4 Depth=1
	s_wait_xcnt 0x0
	s_and_saveexec_b32 s0, s2
	s_cbranch_execz .LBB0_21
; %bb.18:                               ;   in Loop: Header=BB0_4 Depth=1
	s_mov_b32 s8, exec_lo
	s_mov_b32 s1, exec_lo
	v_mbcnt_lo_u32_b32 v4, s8, 0
	s_delay_alu instid0(VALU_DEP_1)
	v_cmpx_eq_u32_e32 0, v4
	s_cbranch_execz .LBB0_20
; %bb.19:                               ;   in Loop: Header=BB0_4 Depth=1
	s_bcnt1_i32_b32 s8, s8
	s_delay_alu instid0(SALU_CYCLE_1)
	v_mov_b32_e32 v4, s8
	global_atomic_add_u32 v5, v4, s[6:7] offset:8 scope:SCOPE_DEV
.LBB0_20:                               ;   in Loop: Header=BB0_4 Depth=1
	s_wait_xcnt 0x0
	s_or_b32 exec_lo, exec_lo, s1
	s_clause 0x1
	global_store_b32 v5, v5, s[14:15]
	global_store_b32 v5, v5, s[16:17]
.LBB0_21:                               ;   in Loop: Header=BB0_4 Depth=1
	s_wait_xcnt 0x0
	s_or_b32 exec_lo, exec_lo, s0
	v_sub_nc_u32_e32 v1, s3, v1
	s_mov_b32 s1, exec_lo
	s_brev_b32 s0, 1
	s_wait_storecnt_dscnt 0x0
	s_barrier_signal -1
	s_barrier_wait -1
.LBB0_22:                               ;   Parent Loop BB0_4 Depth=1
                                        ; =>  This Inner Loop Header: Depth=2
	s_ctz_i32_b32 s8, s1
	s_delay_alu instid0(SALU_CYCLE_1) | instskip(SKIP_1) | instid1(SALU_CYCLE_1)
	v_readlane_b32 s9, v1, s8
	s_lshl_b32 s8, 1, s8
	s_and_not1_b32 s1, s1, s8
	s_max_i32 s0, s0, s9
	s_cmp_lg_u32 s1, 0
	s_cbranch_scc1 .LBB0_22
; %bb.23:                               ;   in Loop: Header=BB0_4 Depth=1
	v_mbcnt_lo_u32_b32 v4, exec_lo, 0
	s_mov_b32 s1, exec_lo
	s_delay_alu instid0(VALU_DEP_1)
	v_cmpx_eq_u32_e32 0, v4
	s_xor_b32 s1, exec_lo, s1
	s_cbranch_execz .LBB0_25
; %bb.24:                               ;   in Loop: Header=BB0_4 Depth=1
	v_mov_b32_e32 v4, s0
	global_atomic_max_i32 v5, v4, s[14:15] scope:SCOPE_DEV
.LBB0_25:                               ;   in Loop: Header=BB0_4 Depth=1
	s_wait_xcnt 0x0
	s_or_b32 exec_lo, exec_lo, s1
	s_wait_storecnt 0x0
	s_barrier_signal -1
	s_barrier_wait -1
	global_load_b32 v4, v5, s[14:15]
	s_mov_b32 s0, exec_lo
	s_wait_loadcnt 0x0
	v_cmpx_eq_u32_e64 v1, v4
	s_cbranch_execz .LBB0_30
; %bb.26:                               ;   in Loop: Header=BB0_4 Depth=1
	s_mov_b32 s8, exec_lo
	s_brev_b32 s1, 1
.LBB0_27:                               ;   Parent Loop BB0_4 Depth=1
                                        ; =>  This Inner Loop Header: Depth=2
	s_ctz_i32_b32 s9, s8
	s_delay_alu instid0(SALU_CYCLE_1) | instskip(SKIP_1) | instid1(SALU_CYCLE_1)
	v_readlane_b32 s22, v0, s9
	s_lshl_b32 s9, 1, s9
	s_and_not1_b32 s8, s8, s9
	s_max_i32 s1, s1, s22
	s_cmp_lg_u32 s8, 0
	s_cbranch_scc1 .LBB0_27
; %bb.28:                               ;   in Loop: Header=BB0_4 Depth=1
	v_mbcnt_lo_u32_b32 v4, exec_lo, 0
	s_mov_b32 s8, exec_lo
	s_delay_alu instid0(VALU_DEP_1)
	v_cmpx_eq_u32_e32 0, v4
	s_xor_b32 s8, exec_lo, s8
	s_cbranch_execz .LBB0_30
; %bb.29:                               ;   in Loop: Header=BB0_4 Depth=1
	v_mov_b32_e32 v4, s1
	global_atomic_max_i32 v5, v4, s[16:17] scope:SCOPE_DEV
.LBB0_30:                               ;   in Loop: Header=BB0_4 Depth=1
	s_wait_xcnt 0x0
	s_or_b32 exec_lo, exec_lo, s0
	s_wait_storecnt 0x0
	s_barrier_signal -1
	s_barrier_wait -1
	global_load_b32 v4, v5, s[16:17]
	s_mov_b32 s0, exec_lo
                                        ; implicit-def: $sgpr1
	s_wait_loadcnt 0x0
	v_cmpx_ne_u32_e64 v4, v0
	s_xor_b32 s0, exec_lo, s0
	s_cbranch_execz .LBB0_32
; %bb.31:                               ;   in Loop: Header=BB0_4 Depth=1
	global_load_b32 v4, v[2:3], off
	s_wait_loadcnt 0x0
	v_mad_u32 v4, 0x1984a2d, v4, 1
	s_delay_alu instid0(VALU_DEP_1) | instskip(SKIP_1) | instid1(VALU_DEP_2)
	v_and_b32_e32 v7, 7, v4
	v_and_b32_e32 v4, 0x7fffffff, v4
	v_cmp_ne_u32_e64 s1, 0, v7
	global_store_b32 v[2:3], v4, off
.LBB0_32:                               ;   in Loop: Header=BB0_4 Depth=1
	s_wait_xcnt 0x0
	s_and_not1_saveexec_b32 s0, s0
	s_cbranch_execz .LBB0_36
; %bb.33:                               ;   in Loop: Header=BB0_4 Depth=1
	s_clause 0x2
	global_load_b32 v7, v5, s[18:19]
	global_load_b32 v4, v5, s[14:15]
	global_load_u8 v8, v5, s[12:13]
	s_wait_loadcnt 0x1
	v_cmp_ge_i32_e32 vcc_lo, v7, v4
	s_wait_loadcnt 0x0
	v_add_nc_u32_e32 v7, 1, v8
	global_store_b8 v5, v7, s[12:13]
	s_cbranch_vccnz .LBB0_35
; %bb.34:                               ;   in Loop: Header=BB0_4 Depth=1
	s_clause 0x1
	global_store_b32 v5, v4, s[18:19]
	global_store_b8 v5, v5, s[12:13]
.LBB0_35:                               ;   in Loop: Header=BB0_4 Depth=1
	s_or_b32 s1, s1, exec_lo
.LBB0_36:                               ;   in Loop: Header=BB0_4 Depth=1
	s_wait_xcnt 0x0
	s_or_b32 exec_lo, exec_lo, s0
	s_wait_storecnt 0x0
	s_barrier_signal -1
	s_barrier_wait -1
	global_load_b32 v4, v[2:3], off
	global_load_b32 v7, v5, s[16:17]
	s_xor_b32 s8, s1, -1
	s_mov_b32 s1, 0
                                        ; implicit-def: $vgpr9
	s_wait_loadcnt 0x1
	v_mad_u32 v10, 0x1984a2d, v4, 1
	v_mad_u32 v8, v4, s34, 0x1984a2e
	s_wait_loadcnt 0x0
	v_cmp_eq_u32_e64 s0, v0, v7
	v_lshlrev_b32_e32 v4, 4, v7
	v_cmp_ne_u32_e32 vcc_lo, v0, v7
                                        ; implicit-def: $vgpr7
	s_and_saveexec_b32 s9, s8
	s_delay_alu instid0(SALU_CYCLE_1)
	s_xor_b32 s8, exec_lo, s9
	s_cbranch_execnz .LBB0_39
; %bb.37:                               ;   in Loop: Header=BB0_4 Depth=1
	s_and_not1_saveexec_b32 s8, s8
	s_cbranch_execnz .LBB0_58
.LBB0_38:                               ;   in Loop: Header=BB0_4 Depth=1
	s_or_b32 exec_lo, exec_lo, s8
	s_and_saveexec_b32 s8, s1
	s_cbranch_execz .LBB0_3
	s_branch .LBB0_77
.LBB0_39:                               ;   in Loop: Header=BB0_4 Depth=1
	s_and_saveexec_b32 s1, vcc_lo
	s_cbranch_execnz .LBB0_78
; %bb.40:                               ;   in Loop: Header=BB0_4 Depth=1
	s_or_b32 exec_lo, exec_lo, s1
	v_mad_u32 v7, v8, s34, 0x1984a2e
	s_and_saveexec_b32 s1, vcc_lo
	s_cbranch_execnz .LBB0_79
.LBB0_41:                               ;   in Loop: Header=BB0_4 Depth=1
	s_or_b32 exec_lo, exec_lo, s1
	s_delay_alu instid0(VALU_DEP_1)
	v_mad_u32 v8, v7, s34, 0x1984a2e
	s_and_saveexec_b32 s1, vcc_lo
	s_cbranch_execnz .LBB0_80
.LBB0_42:                               ;   in Loop: Header=BB0_4 Depth=1
	s_or_b32 exec_lo, exec_lo, s1
	s_delay_alu instid0(VALU_DEP_1)
	v_mad_u32 v7, v8, s34, 0x1984a2e
	s_and_saveexec_b32 s1, vcc_lo
	s_cbranch_execnz .LBB0_81
.LBB0_43:                               ;   in Loop: Header=BB0_4 Depth=1
	s_or_b32 exec_lo, exec_lo, s1
	s_delay_alu instid0(VALU_DEP_1)
	v_mad_u32 v8, v7, s34, 0x1984a2e
	s_and_saveexec_b32 s1, vcc_lo
	s_cbranch_execnz .LBB0_82
.LBB0_44:                               ;   in Loop: Header=BB0_4 Depth=1
	s_or_b32 exec_lo, exec_lo, s1
	s_delay_alu instid0(VALU_DEP_1)
	v_mad_u32 v7, v8, s34, 0x1984a2e
	s_and_saveexec_b32 s1, vcc_lo
	s_cbranch_execnz .LBB0_83
.LBB0_45:                               ;   in Loop: Header=BB0_4 Depth=1
	s_or_b32 exec_lo, exec_lo, s1
	s_delay_alu instid0(VALU_DEP_1)
	v_mad_u32 v8, v7, s34, 0x1984a2e
	s_and_saveexec_b32 s1, vcc_lo
	s_cbranch_execnz .LBB0_84
.LBB0_46:                               ;   in Loop: Header=BB0_4 Depth=1
	s_or_b32 exec_lo, exec_lo, s1
	s_delay_alu instid0(VALU_DEP_1)
	v_mad_u32 v7, v8, s34, 0x1984a2e
	s_and_saveexec_b32 s1, vcc_lo
	s_cbranch_execnz .LBB0_85
.LBB0_47:                               ;   in Loop: Header=BB0_4 Depth=1
	s_or_b32 exec_lo, exec_lo, s1
	s_delay_alu instid0(VALU_DEP_1)
	v_mad_u32 v8, v7, s34, 0x1984a2e
	s_and_saveexec_b32 s1, vcc_lo
	s_cbranch_execnz .LBB0_86
.LBB0_48:                               ;   in Loop: Header=BB0_4 Depth=1
	s_or_b32 exec_lo, exec_lo, s1
	s_delay_alu instid0(VALU_DEP_1)
	v_mad_u32 v7, v8, s34, 0x1984a2e
	s_and_saveexec_b32 s1, vcc_lo
	s_cbranch_execnz .LBB0_87
.LBB0_49:                               ;   in Loop: Header=BB0_4 Depth=1
	s_or_b32 exec_lo, exec_lo, s1
	s_delay_alu instid0(VALU_DEP_1)
	v_mad_u32 v8, v7, s34, 0x1984a2e
	s_and_saveexec_b32 s1, vcc_lo
	s_cbranch_execnz .LBB0_88
.LBB0_50:                               ;   in Loop: Header=BB0_4 Depth=1
	s_or_b32 exec_lo, exec_lo, s1
	s_delay_alu instid0(VALU_DEP_1)
	v_mad_u32 v7, v8, s34, 0x1984a2e
	s_and_saveexec_b32 s1, vcc_lo
	s_cbranch_execnz .LBB0_89
.LBB0_51:                               ;   in Loop: Header=BB0_4 Depth=1
	s_or_b32 exec_lo, exec_lo, s1
	s_delay_alu instid0(VALU_DEP_1)
	v_mad_u32 v8, v7, s34, 0x1984a2e
	s_and_saveexec_b32 s1, vcc_lo
	s_cbranch_execnz .LBB0_90
.LBB0_52:                               ;   in Loop: Header=BB0_4 Depth=1
	s_or_b32 exec_lo, exec_lo, s1
	s_delay_alu instid0(VALU_DEP_1)
	v_mad_u32 v9, v8, s34, 0x1984a2e
	s_and_saveexec_b32 s1, vcc_lo
	s_cbranch_execnz .LBB0_91
.LBB0_53:                               ;   in Loop: Header=BB0_4 Depth=1
	s_or_b32 exec_lo, exec_lo, s1
	s_delay_alu instid0(VALU_DEP_1)
	v_mad_u32 v7, v9, s34, 0x1984a2e
	s_and_saveexec_b32 s1, vcc_lo
	s_cbranch_execz .LBB0_55
.LBB0_54:                               ;   in Loop: Header=BB0_4 Depth=1
	ds_load_u8 v8, v4 offset:14
	v_mad_u32 v9, 0x1984a2d, v9, 1
	s_delay_alu instid0(VALU_DEP_1) | instskip(SKIP_1) | instid1(VALU_DEP_1)
	v_and_b32_e32 v9, v7, v9
	s_wait_dscnt 0x0
	v_bitop3_b16 v8, v8, 7, v9 bitop3:0x48
	ds_store_b8 v6, v8 offset:14
.LBB0_55:                               ;   in Loop: Header=BB0_4 Depth=1
	s_or_b32 exec_lo, exec_lo, s1
	s_delay_alu instid0(VALU_DEP_1) | instskip(SKIP_2) | instid1(SALU_CYCLE_1)
	v_mad_u32 v8, v7, s34, 0x1984a2e
	s_mov_b32 s1, 0
                                        ; implicit-def: $vgpr9
	s_and_saveexec_b32 s9, vcc_lo
	s_xor_b32 s9, exec_lo, s9
	s_cbranch_execz .LBB0_57
; %bb.56:                               ;   in Loop: Header=BB0_4 Depth=1
	ds_load_u8 v4, v4 offset:15
	v_mad_u32 v7, 0x1984a2d, v7, 1
	s_mov_b32 s1, exec_lo
	s_delay_alu instid0(VALU_DEP_1) | instskip(SKIP_1) | instid1(VALU_DEP_1)
	v_and_b32_e32 v7, v8, v7
	s_wait_dscnt 0x0
	v_bitop3_b16 v9, v4, 7, v7 bitop3:0x48
.LBB0_57:                               ;   in Loop: Header=BB0_4 Depth=1
	s_or_b32 exec_lo, exec_lo, s9
	s_delay_alu instid0(VALU_DEP_1)
	v_and_b32_e32 v7, 0x7fffffff, v8
	s_and_b32 s1, s1, exec_lo
                                        ; implicit-def: $vgpr4
                                        ; implicit-def: $vgpr8
                                        ; implicit-def: $vgpr10
	s_and_not1_saveexec_b32 s8, s8
	s_cbranch_execz .LBB0_38
.LBB0_58:                               ;   in Loop: Header=BB0_4 Depth=1
	s_and_saveexec_b32 s9, vcc_lo
	s_cbranch_execnz .LBB0_92
; %bb.59:                               ;   in Loop: Header=BB0_4 Depth=1
	s_or_b32 exec_lo, exec_lo, s9
	v_mad_u32 v7, v8, s34, 0x1984a2e
	s_and_saveexec_b32 s9, vcc_lo
	s_cbranch_execnz .LBB0_93
.LBB0_60:                               ;   in Loop: Header=BB0_4 Depth=1
	s_or_b32 exec_lo, exec_lo, s9
	s_delay_alu instid0(VALU_DEP_1)
	v_mad_u32 v8, v7, s34, 0x1984a2e
	s_and_saveexec_b32 s9, vcc_lo
	s_cbranch_execnz .LBB0_94
.LBB0_61:                               ;   in Loop: Header=BB0_4 Depth=1
	s_or_b32 exec_lo, exec_lo, s9
	s_delay_alu instid0(VALU_DEP_1)
	v_mad_u32 v7, v8, s34, 0x1984a2e
	s_and_saveexec_b32 s9, vcc_lo
	s_cbranch_execnz .LBB0_95
.LBB0_62:                               ;   in Loop: Header=BB0_4 Depth=1
	s_or_b32 exec_lo, exec_lo, s9
	s_delay_alu instid0(VALU_DEP_1)
	v_mad_u32 v8, v7, s34, 0x1984a2e
	s_and_saveexec_b32 s9, vcc_lo
	s_cbranch_execnz .LBB0_96
.LBB0_63:                               ;   in Loop: Header=BB0_4 Depth=1
	s_or_b32 exec_lo, exec_lo, s9
	s_delay_alu instid0(VALU_DEP_1)
	v_mad_u32 v7, v8, s34, 0x1984a2e
	s_and_saveexec_b32 s9, vcc_lo
	s_cbranch_execnz .LBB0_97
.LBB0_64:                               ;   in Loop: Header=BB0_4 Depth=1
	s_or_b32 exec_lo, exec_lo, s9
	s_delay_alu instid0(VALU_DEP_1)
	v_mad_u32 v8, v7, s34, 0x1984a2e
	s_and_saveexec_b32 s9, vcc_lo
	s_cbranch_execnz .LBB0_98
.LBB0_65:                               ;   in Loop: Header=BB0_4 Depth=1
	s_or_b32 exec_lo, exec_lo, s9
	s_delay_alu instid0(VALU_DEP_1)
	v_mad_u32 v7, v8, s34, 0x1984a2e
	s_and_saveexec_b32 s9, vcc_lo
	s_cbranch_execnz .LBB0_99
.LBB0_66:                               ;   in Loop: Header=BB0_4 Depth=1
	s_or_b32 exec_lo, exec_lo, s9
	s_delay_alu instid0(VALU_DEP_1)
	v_mad_u32 v8, v7, s34, 0x1984a2e
	s_and_saveexec_b32 s9, vcc_lo
	s_cbranch_execnz .LBB0_100
.LBB0_67:                               ;   in Loop: Header=BB0_4 Depth=1
	s_or_b32 exec_lo, exec_lo, s9
	s_delay_alu instid0(VALU_DEP_1)
	v_mad_u32 v7, v8, s34, 0x1984a2e
	s_and_saveexec_b32 s9, vcc_lo
	s_cbranch_execnz .LBB0_101
.LBB0_68:                               ;   in Loop: Header=BB0_4 Depth=1
	s_or_b32 exec_lo, exec_lo, s9
	s_delay_alu instid0(VALU_DEP_1)
	v_mad_u32 v8, v7, s34, 0x1984a2e
	s_and_saveexec_b32 s9, vcc_lo
	s_cbranch_execnz .LBB0_102
.LBB0_69:                               ;   in Loop: Header=BB0_4 Depth=1
	s_or_b32 exec_lo, exec_lo, s9
	s_delay_alu instid0(VALU_DEP_1)
	v_mad_u32 v7, v8, s34, 0x1984a2e
	s_and_saveexec_b32 s9, vcc_lo
	s_cbranch_execnz .LBB0_103
.LBB0_70:                               ;   in Loop: Header=BB0_4 Depth=1
	s_or_b32 exec_lo, exec_lo, s9
	s_delay_alu instid0(VALU_DEP_1)
	v_mad_u32 v8, v7, s34, 0x1984a2e
	s_and_saveexec_b32 s9, vcc_lo
	s_cbranch_execnz .LBB0_104
.LBB0_71:                               ;   in Loop: Header=BB0_4 Depth=1
	s_or_b32 exec_lo, exec_lo, s9
	s_delay_alu instid0(VALU_DEP_1)
	v_mad_u32 v7, v8, s34, 0x1984a2e
	s_and_saveexec_b32 s9, vcc_lo
	s_cbranch_execnz .LBB0_105
.LBB0_72:                               ;   in Loop: Header=BB0_4 Depth=1
	s_or_b32 exec_lo, exec_lo, s9
	s_delay_alu instid0(VALU_DEP_1)
	v_mad_u32 v8, v7, s34, 0x1984a2e
	s_and_saveexec_b32 s9, vcc_lo
	s_cbranch_execz .LBB0_74
.LBB0_73:                               ;   in Loop: Header=BB0_4 Depth=1
	ds_load_u8 v9, v6 offset:14
	ds_load_u8 v10, v4 offset:14
	v_mad_u32 v7, 0x1984a2d, v7, 1
	s_delay_alu instid0(VALU_DEP_1) | instskip(SKIP_1) | instid1(VALU_DEP_1)
	v_and_b32_e32 v7, v8, v7
	s_wait_dscnt 0x0
	v_bitop3_b32 v7, v9, v10, v7 bitop3:0xe4
	ds_store_b8 v6, v7 offset:14
.LBB0_74:                               ;   in Loop: Header=BB0_4 Depth=1
	s_or_b32 exec_lo, exec_lo, s9
	s_delay_alu instid0(VALU_DEP_1) | instskip(SKIP_1) | instid1(VALU_DEP_1)
	v_mad_u32 v7, v8, s34, 0x1984a2e
	s_mov_b32 s22, s1
                                        ; implicit-def: $vgpr9
	v_and_b32_e32 v7, 0x7fffffff, v7
	s_and_saveexec_b32 s9, vcc_lo
	s_cbranch_execz .LBB0_76
; %bb.75:                               ;   in Loop: Header=BB0_4 Depth=1
	ds_load_u8 v9, v6 offset:15
	ds_load_u8 v4, v4 offset:15
	v_mad_u32 v8, 0x1984a2d, v8, 1
	s_or_b32 s22, s1, exec_lo
	s_delay_alu instid0(VALU_DEP_1) | instskip(SKIP_2) | instid1(VALU_DEP_1)
	v_and_b32_e32 v8, v7, v8
	s_wait_dscnt 0x0
	v_xor_b32_e32 v9, v9, v4
	v_bitop3_b32 v4, v9, v4, v8 bitop3:0x6c
	s_delay_alu instid0(VALU_DEP_1)
	v_and_b32_e32 v9, 0xff, v4
.LBB0_76:                               ;   in Loop: Header=BB0_4 Depth=1
	s_or_b32 exec_lo, exec_lo, s9
	s_delay_alu instid0(SALU_CYCLE_1) | instskip(SKIP_1) | instid1(SALU_CYCLE_1)
	s_and_not1_b32 s1, s1, exec_lo
	s_and_b32 s9, s22, exec_lo
	s_or_b32 s1, s1, s9
	s_or_b32 exec_lo, exec_lo, s8
	s_and_saveexec_b32 s8, s1
	s_cbranch_execz .LBB0_3
.LBB0_77:                               ;   in Loop: Header=BB0_4 Depth=1
	ds_store_b8 v6, v9 offset:15
	s_branch .LBB0_3
.LBB0_78:                               ;   in Loop: Header=BB0_4 Depth=1
	ds_load_u8 v7, v4
	v_and_b32_e32 v9, v8, v10
	s_wait_dscnt 0x0
	s_delay_alu instid0(VALU_DEP_1)
	v_bitop3_b16 v7, v7, 7, v9 bitop3:0x48
	ds_store_b8 v6, v7
	s_or_b32 exec_lo, exec_lo, s1
	v_mad_u32 v7, v8, s34, 0x1984a2e
	s_and_saveexec_b32 s1, vcc_lo
	s_cbranch_execz .LBB0_41
.LBB0_79:                               ;   in Loop: Header=BB0_4 Depth=1
	ds_load_u8 v9, v4 offset:1
	v_mad_u32 v8, 0x1984a2d, v8, 1
	s_delay_alu instid0(VALU_DEP_1) | instskip(SKIP_1) | instid1(VALU_DEP_1)
	v_and_b32_e32 v8, v7, v8
	s_wait_dscnt 0x0
	v_bitop3_b16 v8, v9, 7, v8 bitop3:0x48
	ds_store_b8 v6, v8 offset:1
	s_or_b32 exec_lo, exec_lo, s1
	v_mad_u32 v8, v7, s34, 0x1984a2e
	s_and_saveexec_b32 s1, vcc_lo
	s_cbranch_execz .LBB0_42
.LBB0_80:                               ;   in Loop: Header=BB0_4 Depth=1
	ds_load_u8 v9, v4 offset:2
	v_mad_u32 v7, 0x1984a2d, v7, 1
	s_delay_alu instid0(VALU_DEP_1) | instskip(SKIP_1) | instid1(VALU_DEP_1)
	v_and_b32_e32 v7, v8, v7
	s_wait_dscnt 0x0
	v_bitop3_b16 v7, v9, 7, v7 bitop3:0x48
	ds_store_b8 v6, v7 offset:2
	s_or_b32 exec_lo, exec_lo, s1
	v_mad_u32 v7, v8, s34, 0x1984a2e
	s_and_saveexec_b32 s1, vcc_lo
	s_cbranch_execz .LBB0_43
.LBB0_81:                               ;   in Loop: Header=BB0_4 Depth=1
	ds_load_u8 v9, v4 offset:3
	v_mad_u32 v8, 0x1984a2d, v8, 1
	s_delay_alu instid0(VALU_DEP_1) | instskip(SKIP_1) | instid1(VALU_DEP_1)
	v_and_b32_e32 v8, v7, v8
	s_wait_dscnt 0x0
	v_bitop3_b16 v8, v9, 7, v8 bitop3:0x48
	ds_store_b8 v6, v8 offset:3
	s_or_b32 exec_lo, exec_lo, s1
	v_mad_u32 v8, v7, s34, 0x1984a2e
	s_and_saveexec_b32 s1, vcc_lo
	s_cbranch_execz .LBB0_44
.LBB0_82:                               ;   in Loop: Header=BB0_4 Depth=1
	ds_load_u8 v9, v4 offset:4
	v_mad_u32 v7, 0x1984a2d, v7, 1
	s_delay_alu instid0(VALU_DEP_1) | instskip(SKIP_1) | instid1(VALU_DEP_1)
	v_and_b32_e32 v7, v8, v7
	s_wait_dscnt 0x0
	v_bitop3_b16 v7, v9, 7, v7 bitop3:0x48
	ds_store_b8 v6, v7 offset:4
	s_or_b32 exec_lo, exec_lo, s1
	v_mad_u32 v7, v8, s34, 0x1984a2e
	s_and_saveexec_b32 s1, vcc_lo
	s_cbranch_execz .LBB0_45
.LBB0_83:                               ;   in Loop: Header=BB0_4 Depth=1
	ds_load_u8 v9, v4 offset:5
	v_mad_u32 v8, 0x1984a2d, v8, 1
	s_delay_alu instid0(VALU_DEP_1) | instskip(SKIP_1) | instid1(VALU_DEP_1)
	v_and_b32_e32 v8, v7, v8
	s_wait_dscnt 0x0
	v_bitop3_b16 v8, v9, 7, v8 bitop3:0x48
	ds_store_b8 v6, v8 offset:5
	s_or_b32 exec_lo, exec_lo, s1
	v_mad_u32 v8, v7, s34, 0x1984a2e
	s_and_saveexec_b32 s1, vcc_lo
	s_cbranch_execz .LBB0_46
.LBB0_84:                               ;   in Loop: Header=BB0_4 Depth=1
	ds_load_u8 v9, v4 offset:6
	v_mad_u32 v7, 0x1984a2d, v7, 1
	s_delay_alu instid0(VALU_DEP_1) | instskip(SKIP_1) | instid1(VALU_DEP_1)
	v_and_b32_e32 v7, v8, v7
	s_wait_dscnt 0x0
	v_bitop3_b16 v7, v9, 7, v7 bitop3:0x48
	ds_store_b8 v6, v7 offset:6
	s_or_b32 exec_lo, exec_lo, s1
	v_mad_u32 v7, v8, s34, 0x1984a2e
	s_and_saveexec_b32 s1, vcc_lo
	s_cbranch_execz .LBB0_47
.LBB0_85:                               ;   in Loop: Header=BB0_4 Depth=1
	ds_load_u8 v9, v4 offset:7
	v_mad_u32 v8, 0x1984a2d, v8, 1
	s_delay_alu instid0(VALU_DEP_1) | instskip(SKIP_1) | instid1(VALU_DEP_1)
	v_and_b32_e32 v8, v7, v8
	s_wait_dscnt 0x0
	v_bitop3_b16 v8, v9, 7, v8 bitop3:0x48
	ds_store_b8 v6, v8 offset:7
	s_or_b32 exec_lo, exec_lo, s1
	v_mad_u32 v8, v7, s34, 0x1984a2e
	s_and_saveexec_b32 s1, vcc_lo
	s_cbranch_execz .LBB0_48
.LBB0_86:                               ;   in Loop: Header=BB0_4 Depth=1
	ds_load_u8 v9, v4 offset:8
	v_mad_u32 v7, 0x1984a2d, v7, 1
	s_delay_alu instid0(VALU_DEP_1) | instskip(SKIP_1) | instid1(VALU_DEP_1)
	v_and_b32_e32 v7, v8, v7
	s_wait_dscnt 0x0
	v_bitop3_b16 v7, v9, 7, v7 bitop3:0x48
	ds_store_b8 v6, v7 offset:8
	s_or_b32 exec_lo, exec_lo, s1
	v_mad_u32 v7, v8, s34, 0x1984a2e
	s_and_saveexec_b32 s1, vcc_lo
	s_cbranch_execz .LBB0_49
.LBB0_87:                               ;   in Loop: Header=BB0_4 Depth=1
	ds_load_u8 v9, v4 offset:9
	v_mad_u32 v8, 0x1984a2d, v8, 1
	s_delay_alu instid0(VALU_DEP_1) | instskip(SKIP_1) | instid1(VALU_DEP_1)
	v_and_b32_e32 v8, v7, v8
	s_wait_dscnt 0x0
	v_bitop3_b16 v8, v9, 7, v8 bitop3:0x48
	ds_store_b8 v6, v8 offset:9
	s_or_b32 exec_lo, exec_lo, s1
	v_mad_u32 v8, v7, s34, 0x1984a2e
	s_and_saveexec_b32 s1, vcc_lo
	s_cbranch_execz .LBB0_50
.LBB0_88:                               ;   in Loop: Header=BB0_4 Depth=1
	ds_load_u8 v9, v4 offset:10
	v_mad_u32 v7, 0x1984a2d, v7, 1
	s_delay_alu instid0(VALU_DEP_1) | instskip(SKIP_1) | instid1(VALU_DEP_1)
	v_and_b32_e32 v7, v8, v7
	s_wait_dscnt 0x0
	v_bitop3_b16 v7, v9, 7, v7 bitop3:0x48
	ds_store_b8 v6, v7 offset:10
	s_or_b32 exec_lo, exec_lo, s1
	v_mad_u32 v7, v8, s34, 0x1984a2e
	s_and_saveexec_b32 s1, vcc_lo
	s_cbranch_execz .LBB0_51
.LBB0_89:                               ;   in Loop: Header=BB0_4 Depth=1
	ds_load_u8 v9, v4 offset:11
	v_mad_u32 v8, 0x1984a2d, v8, 1
	s_delay_alu instid0(VALU_DEP_1) | instskip(SKIP_1) | instid1(VALU_DEP_1)
	v_and_b32_e32 v8, v7, v8
	s_wait_dscnt 0x0
	v_bitop3_b16 v8, v9, 7, v8 bitop3:0x48
	ds_store_b8 v6, v8 offset:11
	s_or_b32 exec_lo, exec_lo, s1
	v_mad_u32 v8, v7, s34, 0x1984a2e
	s_and_saveexec_b32 s1, vcc_lo
	s_cbranch_execz .LBB0_52
.LBB0_90:                               ;   in Loop: Header=BB0_4 Depth=1
	ds_load_u8 v9, v4 offset:12
	v_mad_u32 v7, 0x1984a2d, v7, 1
	s_delay_alu instid0(VALU_DEP_1) | instskip(SKIP_1) | instid1(VALU_DEP_1)
	v_and_b32_e32 v7, v8, v7
	s_wait_dscnt 0x0
	v_bitop3_b16 v7, v9, 7, v7 bitop3:0x48
	ds_store_b8 v6, v7 offset:12
	s_or_b32 exec_lo, exec_lo, s1
	v_mad_u32 v9, v8, s34, 0x1984a2e
	s_and_saveexec_b32 s1, vcc_lo
	s_cbranch_execz .LBB0_53
.LBB0_91:                               ;   in Loop: Header=BB0_4 Depth=1
	ds_load_u8 v7, v4 offset:13
	v_mad_u32 v8, 0x1984a2d, v8, 1
	s_delay_alu instid0(VALU_DEP_1) | instskip(SKIP_1) | instid1(VALU_DEP_1)
	v_and_b32_e32 v8, v9, v8
	s_wait_dscnt 0x0
	v_bitop3_b16 v7, v7, 7, v8 bitop3:0x48
	ds_store_b8 v6, v7 offset:13
	s_or_b32 exec_lo, exec_lo, s1
	v_mad_u32 v7, v9, s34, 0x1984a2e
	s_and_saveexec_b32 s1, vcc_lo
	s_cbranch_execnz .LBB0_54
	s_branch .LBB0_55
.LBB0_92:                               ;   in Loop: Header=BB0_4 Depth=1
	ds_load_u8 v7, v6
	ds_load_u8 v9, v4
	v_and_b32_e32 v10, v8, v10
	s_wait_dscnt 0x0
	s_delay_alu instid0(VALU_DEP_1)
	v_bitop3_b32 v7, v7, v9, v10 bitop3:0xe4
	ds_store_b8 v6, v7
	s_or_b32 exec_lo, exec_lo, s9
	v_mad_u32 v7, v8, s34, 0x1984a2e
	s_and_saveexec_b32 s9, vcc_lo
	s_cbranch_execz .LBB0_60
.LBB0_93:                               ;   in Loop: Header=BB0_4 Depth=1
	ds_load_u8 v9, v6 offset:1
	ds_load_u8 v10, v4 offset:1
	v_mad_u32 v8, 0x1984a2d, v8, 1
	s_delay_alu instid0(VALU_DEP_1) | instskip(SKIP_1) | instid1(VALU_DEP_1)
	v_and_b32_e32 v8, v7, v8
	s_wait_dscnt 0x0
	v_bitop3_b32 v8, v9, v10, v8 bitop3:0xe4
	ds_store_b8 v6, v8 offset:1
	s_or_b32 exec_lo, exec_lo, s9
	v_mad_u32 v8, v7, s34, 0x1984a2e
	s_and_saveexec_b32 s9, vcc_lo
	s_cbranch_execz .LBB0_61
.LBB0_94:                               ;   in Loop: Header=BB0_4 Depth=1
	ds_load_u8 v9, v6 offset:2
	ds_load_u8 v10, v4 offset:2
	v_mad_u32 v7, 0x1984a2d, v7, 1
	s_delay_alu instid0(VALU_DEP_1) | instskip(SKIP_1) | instid1(VALU_DEP_1)
	v_and_b32_e32 v7, v8, v7
	s_wait_dscnt 0x0
	v_bitop3_b32 v7, v9, v10, v7 bitop3:0xe4
	ds_store_b8 v6, v7 offset:2
	s_or_b32 exec_lo, exec_lo, s9
	v_mad_u32 v7, v8, s34, 0x1984a2e
	s_and_saveexec_b32 s9, vcc_lo
	s_cbranch_execz .LBB0_62
.LBB0_95:                               ;   in Loop: Header=BB0_4 Depth=1
	ds_load_u8 v9, v6 offset:3
	ds_load_u8 v10, v4 offset:3
	v_mad_u32 v8, 0x1984a2d, v8, 1
	s_delay_alu instid0(VALU_DEP_1) | instskip(SKIP_1) | instid1(VALU_DEP_1)
	v_and_b32_e32 v8, v7, v8
	s_wait_dscnt 0x0
	v_bitop3_b32 v8, v9, v10, v8 bitop3:0xe4
	ds_store_b8 v6, v8 offset:3
	s_or_b32 exec_lo, exec_lo, s9
	v_mad_u32 v8, v7, s34, 0x1984a2e
	s_and_saveexec_b32 s9, vcc_lo
	s_cbranch_execz .LBB0_63
.LBB0_96:                               ;   in Loop: Header=BB0_4 Depth=1
	ds_load_u8 v9, v6 offset:4
	ds_load_u8 v10, v4 offset:4
	v_mad_u32 v7, 0x1984a2d, v7, 1
	s_delay_alu instid0(VALU_DEP_1) | instskip(SKIP_1) | instid1(VALU_DEP_1)
	v_and_b32_e32 v7, v8, v7
	s_wait_dscnt 0x0
	v_bitop3_b32 v7, v9, v10, v7 bitop3:0xe4
	ds_store_b8 v6, v7 offset:4
	s_or_b32 exec_lo, exec_lo, s9
	v_mad_u32 v7, v8, s34, 0x1984a2e
	s_and_saveexec_b32 s9, vcc_lo
	s_cbranch_execz .LBB0_64
.LBB0_97:                               ;   in Loop: Header=BB0_4 Depth=1
	ds_load_u8 v9, v6 offset:5
	ds_load_u8 v10, v4 offset:5
	v_mad_u32 v8, 0x1984a2d, v8, 1
	s_delay_alu instid0(VALU_DEP_1) | instskip(SKIP_1) | instid1(VALU_DEP_1)
	v_and_b32_e32 v8, v7, v8
	s_wait_dscnt 0x0
	v_bitop3_b32 v8, v9, v10, v8 bitop3:0xe4
	ds_store_b8 v6, v8 offset:5
	s_or_b32 exec_lo, exec_lo, s9
	v_mad_u32 v8, v7, s34, 0x1984a2e
	s_and_saveexec_b32 s9, vcc_lo
	s_cbranch_execz .LBB0_65
.LBB0_98:                               ;   in Loop: Header=BB0_4 Depth=1
	ds_load_u8 v9, v6 offset:6
	ds_load_u8 v10, v4 offset:6
	v_mad_u32 v7, 0x1984a2d, v7, 1
	s_delay_alu instid0(VALU_DEP_1) | instskip(SKIP_1) | instid1(VALU_DEP_1)
	v_and_b32_e32 v7, v8, v7
	s_wait_dscnt 0x0
	v_bitop3_b32 v7, v9, v10, v7 bitop3:0xe4
	ds_store_b8 v6, v7 offset:6
	s_or_b32 exec_lo, exec_lo, s9
	v_mad_u32 v7, v8, s34, 0x1984a2e
	s_and_saveexec_b32 s9, vcc_lo
	s_cbranch_execz .LBB0_66
.LBB0_99:                               ;   in Loop: Header=BB0_4 Depth=1
	ds_load_u8 v9, v6 offset:7
	ds_load_u8 v10, v4 offset:7
	v_mad_u32 v8, 0x1984a2d, v8, 1
	s_delay_alu instid0(VALU_DEP_1) | instskip(SKIP_1) | instid1(VALU_DEP_1)
	v_and_b32_e32 v8, v7, v8
	s_wait_dscnt 0x0
	v_bitop3_b32 v8, v9, v10, v8 bitop3:0xe4
	ds_store_b8 v6, v8 offset:7
	s_or_b32 exec_lo, exec_lo, s9
	v_mad_u32 v8, v7, s34, 0x1984a2e
	s_and_saveexec_b32 s9, vcc_lo
	s_cbranch_execz .LBB0_67
.LBB0_100:                              ;   in Loop: Header=BB0_4 Depth=1
	ds_load_u8 v9, v6 offset:8
	ds_load_u8 v10, v4 offset:8
	v_mad_u32 v7, 0x1984a2d, v7, 1
	s_delay_alu instid0(VALU_DEP_1) | instskip(SKIP_1) | instid1(VALU_DEP_1)
	v_and_b32_e32 v7, v8, v7
	s_wait_dscnt 0x0
	v_bitop3_b32 v7, v9, v10, v7 bitop3:0xe4
	ds_store_b8 v6, v7 offset:8
	s_or_b32 exec_lo, exec_lo, s9
	v_mad_u32 v7, v8, s34, 0x1984a2e
	s_and_saveexec_b32 s9, vcc_lo
	s_cbranch_execz .LBB0_68
.LBB0_101:                              ;   in Loop: Header=BB0_4 Depth=1
	ds_load_u8 v9, v6 offset:9
	ds_load_u8 v10, v4 offset:9
	v_mad_u32 v8, 0x1984a2d, v8, 1
	s_delay_alu instid0(VALU_DEP_1) | instskip(SKIP_1) | instid1(VALU_DEP_1)
	v_and_b32_e32 v8, v7, v8
	s_wait_dscnt 0x0
	v_bitop3_b32 v8, v9, v10, v8 bitop3:0xe4
	ds_store_b8 v6, v8 offset:9
	s_or_b32 exec_lo, exec_lo, s9
	v_mad_u32 v8, v7, s34, 0x1984a2e
	s_and_saveexec_b32 s9, vcc_lo
	s_cbranch_execz .LBB0_69
.LBB0_102:                              ;   in Loop: Header=BB0_4 Depth=1
	ds_load_u8 v9, v6 offset:10
	ds_load_u8 v10, v4 offset:10
	v_mad_u32 v7, 0x1984a2d, v7, 1
	s_delay_alu instid0(VALU_DEP_1) | instskip(SKIP_1) | instid1(VALU_DEP_1)
	v_and_b32_e32 v7, v8, v7
	s_wait_dscnt 0x0
	v_bitop3_b32 v7, v9, v10, v7 bitop3:0xe4
	ds_store_b8 v6, v7 offset:10
	s_or_b32 exec_lo, exec_lo, s9
	v_mad_u32 v7, v8, s34, 0x1984a2e
	s_and_saveexec_b32 s9, vcc_lo
	s_cbranch_execz .LBB0_70
.LBB0_103:                              ;   in Loop: Header=BB0_4 Depth=1
	ds_load_u8 v9, v6 offset:11
	ds_load_u8 v10, v4 offset:11
	v_mad_u32 v8, 0x1984a2d, v8, 1
	s_delay_alu instid0(VALU_DEP_1) | instskip(SKIP_1) | instid1(VALU_DEP_1)
	v_and_b32_e32 v8, v7, v8
	s_wait_dscnt 0x0
	v_bitop3_b32 v8, v9, v10, v8 bitop3:0xe4
	ds_store_b8 v6, v8 offset:11
	s_or_b32 exec_lo, exec_lo, s9
	v_mad_u32 v8, v7, s34, 0x1984a2e
	s_and_saveexec_b32 s9, vcc_lo
	s_cbranch_execz .LBB0_71
.LBB0_104:                              ;   in Loop: Header=BB0_4 Depth=1
	ds_load_u8 v9, v6 offset:12
	ds_load_u8 v10, v4 offset:12
	v_mad_u32 v7, 0x1984a2d, v7, 1
	s_delay_alu instid0(VALU_DEP_1) | instskip(SKIP_1) | instid1(VALU_DEP_1)
	v_and_b32_e32 v7, v8, v7
	s_wait_dscnt 0x0
	v_bitop3_b32 v7, v9, v10, v7 bitop3:0xe4
	ds_store_b8 v6, v7 offset:12
	s_or_b32 exec_lo, exec_lo, s9
	v_mad_u32 v7, v8, s34, 0x1984a2e
	s_and_saveexec_b32 s9, vcc_lo
	s_cbranch_execz .LBB0_72
.LBB0_105:                              ;   in Loop: Header=BB0_4 Depth=1
	ds_load_u8 v9, v6 offset:13
	ds_load_u8 v10, v4 offset:13
	v_mad_u32 v8, 0x1984a2d, v8, 1
	s_delay_alu instid0(VALU_DEP_1) | instskip(SKIP_1) | instid1(VALU_DEP_1)
	v_and_b32_e32 v8, v7, v8
	s_wait_dscnt 0x0
	v_bitop3_b32 v8, v9, v10, v8 bitop3:0xe4
	ds_store_b8 v6, v8 offset:13
	s_or_b32 exec_lo, exec_lo, s9
	v_mad_u32 v8, v7, s34, 0x1984a2e
	s_and_saveexec_b32 s9, vcc_lo
	s_cbranch_execnz .LBB0_73
	s_branch .LBB0_74
.LBB0_106:
	s_wait_xcnt 0x0
	s_and_saveexec_b32 s1, s0
	s_cbranch_execz .LBB0_112
; %bb.107:
	v_mov_b32_e32 v0, 0
	s_bfe_i64 s[2:3], s[20:21], 0x200000
	s_mov_b32 s0, exec_lo
	s_delay_alu instid0(VALU_DEP_1)
	v_add_nc_u64_e32 v[2:3], s[2:3], v[0:1]
	v_mov_b64_e32 v[0:1], 0
.LBB0_108:                              ; =>This Inner Loop Header: Depth=1
	s_ctz_i32_b32 s1, s0
	s_delay_alu instid0(VALU_DEP_2) | instid1(SALU_CYCLE_1)
	v_readlane_b32 s3, v3, s1
	s_delay_alu instid0(VALU_DEP_3) | instskip(SKIP_1) | instid1(SALU_CYCLE_1)
	v_readlane_b32 s2, v2, s1
	s_lshl_b32 s1, 1, s1
	s_and_not1_b32 s0, s0, s1
	v_max_u64 v[0:1], v[0:1], s[2:3]
	s_cmp_lg_u32 s0, 0
	s_cbranch_scc1 .LBB0_108
; %bb.109:
	v_mbcnt_lo_u32_b32 v2, exec_lo, 0
	s_mov_b32 s0, exec_lo
	s_delay_alu instid0(VALU_DEP_1)
	v_cmpx_eq_u32_e32 0, v2
	s_xor_b32 s0, exec_lo, s0
	s_cbranch_execz .LBB0_111
; %bb.110:
	v_mov_b32_e32 v2, 0
	global_atomic_max_u64 v2, v[0:1], s[6:7] scope:SCOPE_DEV
.LBB0_111:
	s_wait_xcnt 0x0
	s_or_b32 exec_lo, exec_lo, s0
	ds_load_b128 v[0:3], v6
	v_mov_b32_e32 v4, s20
	s_wait_dscnt 0x0
	global_store_b128 v4, v[0:3], s[10:11] scale_offset
.LBB0_112:
	s_endpgm
	.section	.rodata,"a",@progbits
	.p2align	6, 0x0
	.amdhsa_kernel _Z9FSMKerneliPKtPiPjPhS3_S1_S1_S1_
		.amdhsa_group_segment_fixed_size 4096
		.amdhsa_private_segment_fixed_size 32784
		.amdhsa_kernarg_size 328
		.amdhsa_user_sgpr_count 2
		.amdhsa_user_sgpr_dispatch_ptr 0
		.amdhsa_user_sgpr_queue_ptr 0
		.amdhsa_user_sgpr_kernarg_segment_ptr 1
		.amdhsa_user_sgpr_dispatch_id 0
		.amdhsa_user_sgpr_kernarg_preload_length 0
		.amdhsa_user_sgpr_kernarg_preload_offset 0
		.amdhsa_user_sgpr_private_segment_size 0
		.amdhsa_wavefront_size32 1
		.amdhsa_uses_dynamic_stack 0
		.amdhsa_enable_private_segment 1
		.amdhsa_system_sgpr_workgroup_id_x 1
		.amdhsa_system_sgpr_workgroup_id_y 0
		.amdhsa_system_sgpr_workgroup_id_z 0
		.amdhsa_system_sgpr_workgroup_info 0
		.amdhsa_system_vgpr_workitem_id 0
		.amdhsa_next_free_vgpr 20
		.amdhsa_next_free_sgpr 40
		.amdhsa_named_barrier_count 0
		.amdhsa_reserve_vcc 1
		.amdhsa_float_round_mode_32 0
		.amdhsa_float_round_mode_16_64 0
		.amdhsa_float_denorm_mode_32 3
		.amdhsa_float_denorm_mode_16_64 3
		.amdhsa_fp16_overflow 0
		.amdhsa_memory_ordered 1
		.amdhsa_forward_progress 1
		.amdhsa_inst_pref_size 49
		.amdhsa_round_robin_scheduling 0
		.amdhsa_exception_fp_ieee_invalid_op 0
		.amdhsa_exception_fp_denorm_src 0
		.amdhsa_exception_fp_ieee_div_zero 0
		.amdhsa_exception_fp_ieee_overflow 0
		.amdhsa_exception_fp_ieee_underflow 0
		.amdhsa_exception_fp_ieee_inexact 0
		.amdhsa_exception_int_div_zero 0
	.end_amdhsa_kernel
	.text
.Lfunc_end0:
	.size	_Z9FSMKerneliPKtPiPjPhS3_S1_S1_S1_, .Lfunc_end0-_Z9FSMKerneliPKtPiPjPhS3_S1_S1_S1_
                                        ; -- End function
	.set _Z9FSMKerneliPKtPiPjPhS3_S1_S1_S1_.num_vgpr, 20
	.set _Z9FSMKerneliPKtPiPjPhS3_S1_S1_S1_.num_agpr, 0
	.set _Z9FSMKerneliPKtPiPjPhS3_S1_S1_S1_.numbered_sgpr, 40
	.set _Z9FSMKerneliPKtPiPjPhS3_S1_S1_S1_.num_named_barrier, 0
	.set _Z9FSMKerneliPKtPiPjPhS3_S1_S1_S1_.private_seg_size, 32784
	.set _Z9FSMKerneliPKtPiPjPhS3_S1_S1_S1_.uses_vcc, 1
	.set _Z9FSMKerneliPKtPiPjPhS3_S1_S1_S1_.uses_flat_scratch, 1
	.set _Z9FSMKerneliPKtPiPjPhS3_S1_S1_S1_.has_dyn_sized_stack, 0
	.set _Z9FSMKerneliPKtPiPjPhS3_S1_S1_S1_.has_recursion, 0
	.set _Z9FSMKerneliPKtPiPjPhS3_S1_S1_S1_.has_indirect_call, 0
	.section	.AMDGPU.csdata,"",@progbits
; Kernel info:
; codeLenInByte = 6196
; TotalNumSgprs: 42
; NumVgprs: 20
; ScratchSize: 32784
; MemoryBound: 0
; FloatMode: 240
; IeeeMode: 1
; LDSByteSize: 4096 bytes/workgroup (compile time only)
; SGPRBlocks: 0
; VGPRBlocks: 1
; NumSGPRsForWavesPerEU: 42
; NumVGPRsForWavesPerEU: 20
; NamedBarCnt: 0
; Occupancy: 16
; WaveLimiterHint : 0
; COMPUTE_PGM_RSRC2:SCRATCH_EN: 1
; COMPUTE_PGM_RSRC2:USER_SGPR: 2
; COMPUTE_PGM_RSRC2:TRAP_HANDLER: 0
; COMPUTE_PGM_RSRC2:TGID_X_EN: 1
; COMPUTE_PGM_RSRC2:TGID_Y_EN: 0
; COMPUTE_PGM_RSRC2:TGID_Z_EN: 0
; COMPUTE_PGM_RSRC2:TIDIG_COMP_CNT: 0
	.text
	.protected	_Z9MaxKernelPiPKh       ; -- Begin function _Z9MaxKernelPiPKh
	.globl	_Z9MaxKernelPiPKh
	.p2align	8
	.type	_Z9MaxKernelPiPKh,@function
_Z9MaxKernelPiPKh:                      ; @_Z9MaxKernelPiPKh
; %bb.0:
	s_load_b128 s[0:3], s[0:1], 0x0
	v_mov_b32_e32 v20, 0
	s_wait_kmcnt 0x0
	s_load_b32 s4, s[0:1], 0x0
	s_wait_kmcnt 0x0
	v_mov_b32_e32 v0, s4
	global_load_b128 v[0:3], v0, s[2:3] scale_offset
	s_wait_loadcnt 0x0
	v_dual_lshrrev_b32 v7, 24, v0 :: v_dual_lshrrev_b32 v11, 24, v1
	v_and_b32_e32 v4, 0xff, v0
	v_bfe_u32 v5, v0, 8, 8
	v_bfe_u32 v6, v0, 16, 8
	v_and_b32_e32 v8, 0xff, v1
	v_bfe_u32 v9, v1, 8, 8
	v_bfe_u32 v10, v1, 16, 8
	v_dual_lshrrev_b32 v15, 24, v2 :: v_dual_lshrrev_b32 v19, 24, v3
	v_and_b32_e32 v12, 0xff, v2
	v_bfe_u32 v13, v2, 8, 8
	v_bfe_u32 v14, v2, 16, 8
	v_and_b32_e32 v16, 0xff, v3
	v_bfe_u32 v17, v3, 8, 8
	v_bfe_u32 v18, v3, 16, 8
	s_clause 0x3
	global_store_b128 v20, v[4:7], s[0:1] offset:12
	global_store_b128 v20, v[8:11], s[0:1] offset:28
	;; [unrolled: 1-line block ×4, first 2 shown]
	s_endpgm
	.section	.rodata,"a",@progbits
	.p2align	6, 0x0
	.amdhsa_kernel _Z9MaxKernelPiPKh
		.amdhsa_group_segment_fixed_size 0
		.amdhsa_private_segment_fixed_size 0
		.amdhsa_kernarg_size 16
		.amdhsa_user_sgpr_count 2
		.amdhsa_user_sgpr_dispatch_ptr 0
		.amdhsa_user_sgpr_queue_ptr 0
		.amdhsa_user_sgpr_kernarg_segment_ptr 1
		.amdhsa_user_sgpr_dispatch_id 0
		.amdhsa_user_sgpr_kernarg_preload_length 0
		.amdhsa_user_sgpr_kernarg_preload_offset 0
		.amdhsa_user_sgpr_private_segment_size 0
		.amdhsa_wavefront_size32 1
		.amdhsa_uses_dynamic_stack 0
		.amdhsa_enable_private_segment 0
		.amdhsa_system_sgpr_workgroup_id_x 1
		.amdhsa_system_sgpr_workgroup_id_y 0
		.amdhsa_system_sgpr_workgroup_id_z 0
		.amdhsa_system_sgpr_workgroup_info 0
		.amdhsa_system_vgpr_workitem_id 0
		.amdhsa_next_free_vgpr 21
		.amdhsa_next_free_sgpr 5
		.amdhsa_named_barrier_count 0
		.amdhsa_reserve_vcc 0
		.amdhsa_float_round_mode_32 0
		.amdhsa_float_round_mode_16_64 0
		.amdhsa_float_denorm_mode_32 3
		.amdhsa_float_denorm_mode_16_64 3
		.amdhsa_fp16_overflow 0
		.amdhsa_memory_ordered 1
		.amdhsa_forward_progress 1
		.amdhsa_inst_pref_size 2
		.amdhsa_round_robin_scheduling 0
		.amdhsa_exception_fp_ieee_invalid_op 0
		.amdhsa_exception_fp_denorm_src 0
		.amdhsa_exception_fp_ieee_div_zero 0
		.amdhsa_exception_fp_ieee_overflow 0
		.amdhsa_exception_fp_ieee_underflow 0
		.amdhsa_exception_fp_ieee_inexact 0
		.amdhsa_exception_int_div_zero 0
	.end_amdhsa_kernel
	.text
.Lfunc_end1:
	.size	_Z9MaxKernelPiPKh, .Lfunc_end1-_Z9MaxKernelPiPKh
                                        ; -- End function
	.set _Z9MaxKernelPiPKh.num_vgpr, 21
	.set _Z9MaxKernelPiPKh.num_agpr, 0
	.set _Z9MaxKernelPiPKh.numbered_sgpr, 5
	.set _Z9MaxKernelPiPKh.num_named_barrier, 0
	.set _Z9MaxKernelPiPKh.private_seg_size, 0
	.set _Z9MaxKernelPiPKh.uses_vcc, 0
	.set _Z9MaxKernelPiPKh.uses_flat_scratch, 0
	.set _Z9MaxKernelPiPKh.has_dyn_sized_stack, 0
	.set _Z9MaxKernelPiPKh.has_recursion, 0
	.set _Z9MaxKernelPiPKh.has_indirect_call, 0
	.section	.AMDGPU.csdata,"",@progbits
; Kernel info:
; codeLenInByte = 224
; TotalNumSgprs: 5
; NumVgprs: 21
; ScratchSize: 0
; MemoryBound: 0
; FloatMode: 240
; IeeeMode: 1
; LDSByteSize: 0 bytes/workgroup (compile time only)
; SGPRBlocks: 0
; VGPRBlocks: 1
; NumSGPRsForWavesPerEU: 5
; NumVGPRsForWavesPerEU: 21
; NamedBarCnt: 0
; Occupancy: 16
; WaveLimiterHint : 1
; COMPUTE_PGM_RSRC2:SCRATCH_EN: 0
; COMPUTE_PGM_RSRC2:USER_SGPR: 2
; COMPUTE_PGM_RSRC2:TRAP_HANDLER: 0
; COMPUTE_PGM_RSRC2:TGID_X_EN: 1
; COMPUTE_PGM_RSRC2:TGID_Y_EN: 0
; COMPUTE_PGM_RSRC2:TGID_Z_EN: 0
; COMPUTE_PGM_RSRC2:TIDIG_COMP_CNT: 0
	.text
	.p2alignl 7, 3214868480
	.fill 96, 4, 3214868480
	.section	.AMDGPU.gpr_maximums,"",@progbits
	.set amdgpu.max_num_vgpr, 0
	.set amdgpu.max_num_agpr, 0
	.set amdgpu.max_num_sgpr, 0
	.text
	.type	__hip_cuid_9bae92e8b9a182ff,@object ; @__hip_cuid_9bae92e8b9a182ff
	.section	.bss,"aw",@nobits
	.globl	__hip_cuid_9bae92e8b9a182ff
__hip_cuid_9bae92e8b9a182ff:
	.byte	0                               ; 0x0
	.size	__hip_cuid_9bae92e8b9a182ff, 1

	.ident	"AMD clang version 22.0.0git (https://github.com/RadeonOpenCompute/llvm-project roc-7.2.4 26084 f58b06dce1f9c15707c5f808fd002e18c2accf7e)"
	.section	".note.GNU-stack","",@progbits
	.addrsig
	.addrsig_sym __hip_cuid_9bae92e8b9a182ff
	.amdgpu_metadata
---
amdhsa.kernels:
  - .args:
      - .offset:         0
        .size:           4
        .value_kind:     by_value
      - .actual_access:  read_only
        .address_space:  global
        .offset:         8
        .size:           8
        .value_kind:     global_buffer
      - .address_space:  global
        .offset:         16
        .size:           8
        .value_kind:     global_buffer
      - .address_space:  global
        .offset:         24
        .size:           8
        .value_kind:     global_buffer
      - .actual_access:  write_only
        .address_space:  global
        .offset:         32
        .size:           8
        .value_kind:     global_buffer
      - .address_space:  global
        .offset:         40
        .size:           8
        .value_kind:     global_buffer
      - .address_space:  global
        .offset:         48
        .size:           8
        .value_kind:     global_buffer
      - .address_space:  global
        .offset:         56
        .size:           8
        .value_kind:     global_buffer
      - .address_space:  global
        .offset:         64
        .size:           8
        .value_kind:     global_buffer
      - .offset:         72
        .size:           4
        .value_kind:     hidden_block_count_x
      - .offset:         76
        .size:           4
        .value_kind:     hidden_block_count_y
      - .offset:         80
        .size:           4
        .value_kind:     hidden_block_count_z
      - .offset:         84
        .size:           2
        .value_kind:     hidden_group_size_x
      - .offset:         86
        .size:           2
        .value_kind:     hidden_group_size_y
      - .offset:         88
        .size:           2
        .value_kind:     hidden_group_size_z
      - .offset:         90
        .size:           2
        .value_kind:     hidden_remainder_x
      - .offset:         92
        .size:           2
        .value_kind:     hidden_remainder_y
      - .offset:         94
        .size:           2
        .value_kind:     hidden_remainder_z
      - .offset:         112
        .size:           8
        .value_kind:     hidden_global_offset_x
      - .offset:         120
        .size:           8
        .value_kind:     hidden_global_offset_y
      - .offset:         128
        .size:           8
        .value_kind:     hidden_global_offset_z
      - .offset:         136
        .size:           2
        .value_kind:     hidden_grid_dims
    .group_segment_fixed_size: 4096
    .kernarg_segment_align: 8
    .kernarg_segment_size: 328
    .language:       OpenCL C
    .language_version:
      - 2
      - 0
    .max_flat_workgroup_size: 1024
    .name:           _Z9FSMKerneliPKtPiPjPhS3_S1_S1_S1_
    .private_segment_fixed_size: 32784
    .sgpr_count:     42
    .sgpr_spill_count: 0
    .symbol:         _Z9FSMKerneliPKtPiPjPhS3_S1_S1_S1_.kd
    .uniform_work_group_size: 1
    .uses_dynamic_stack: false
    .vgpr_count:     20
    .vgpr_spill_count: 0
    .wavefront_size: 32
  - .args:
      - .address_space:  global
        .offset:         0
        .size:           8
        .value_kind:     global_buffer
      - .actual_access:  read_only
        .address_space:  global
        .offset:         8
        .size:           8
        .value_kind:     global_buffer
    .group_segment_fixed_size: 0
    .kernarg_segment_align: 8
    .kernarg_segment_size: 16
    .language:       OpenCL C
    .language_version:
      - 2
      - 0
    .max_flat_workgroup_size: 1024
    .name:           _Z9MaxKernelPiPKh
    .private_segment_fixed_size: 0
    .sgpr_count:     5
    .sgpr_spill_count: 0
    .symbol:         _Z9MaxKernelPiPKh.kd
    .uniform_work_group_size: 1
    .uses_dynamic_stack: false
    .vgpr_count:     21
    .vgpr_spill_count: 0
    .wavefront_size: 32
amdhsa.target:   amdgcn-amd-amdhsa--gfx1250
amdhsa.version:
  - 1
  - 2
...

	.end_amdgpu_metadata
